;; amdgpu-corpus repo=ROCm/rocm-libraries kind=compiled arch=gfx906 opt=O3
	.amdgcn_target "amdgcn-amd-amdhsa--gfx906"
	.amdhsa_code_object_version 6
	.text
	.protected	miopen_conv3d_depthwise_fwd ; -- Begin function miopen_conv3d_depthwise_fwd
	.globl	miopen_conv3d_depthwise_fwd
	.p2align	8
	.type	miopen_conv3d_depthwise_fwd,@function
miopen_conv3d_depthwise_fwd:            ; @miopen_conv3d_depthwise_fwd
; %bb.0:
	s_load_dwordx8 s[12:19], s[4:5], 0x20
	s_mov_b32 s28, s7
	v_lshlrev_b32_e32 v36, 1, v0
	s_waitcnt lgkmcnt(0)
	s_abs_i32 s0, s12
	v_cvt_f32_u32_e32 v1, s0
	s_sub_i32 s3, 0, s0
	s_abs_i32 s2, s16
	s_xor_b32 s1, s16, s12
	v_rcp_iflag_f32_e32 v1, v1
	s_ashr_i32 s1, s1, 31
	v_mul_f32_e32 v1, 0x4f7ffffe, v1
	v_cvt_u32_f32_e32 v1, v1
	v_readfirstlane_b32 s7, v1
	s_mul_i32 s3, s3, s7
	s_mul_hi_u32 s3, s7, s3
	s_add_i32 s7, s7, s3
	s_mul_hi_u32 s3, s2, s7
	s_mul_i32 s7, s3, s0
	s_sub_i32 s2, s2, s7
	s_add_i32 s9, s3, 1
	s_sub_i32 s7, s2, s0
	s_cmp_ge_u32 s2, s0
	s_cselect_b32 s3, s9, s3
	s_cselect_b32 s2, s7, s2
	s_add_i32 s7, s3, 1
	s_cmp_ge_u32 s2, s0
	s_cselect_b32 s0, s7, s3
	s_xor_b32 s0, s0, s1
	s_sub_i32 s30, s0, s1
	s_abs_i32 s7, s30
	v_cvt_f32_u32_e32 v1, s7
	s_load_dword s1, s[4:5], 0x4c
	s_sub_i32 s2, 0, s7
	s_abs_i32 s9, s28
	v_rcp_iflag_f32_e32 v1, v1
	s_mov_b32 s0, 0
	v_mul_f32_e32 v1, 0x4f7ffffe, v1
	v_cvt_u32_f32_e32 v1, v1
	v_readfirstlane_b32 s31, v1
	s_mul_i32 s2, s2, s31
	s_mul_hi_u32 s2, s31, s2
	s_add_i32 s31, s31, s2
	s_add_u32 s10, s4, 64
	s_addc_u32 s11, s5, 0
	s_waitcnt lgkmcnt(0)
	s_and_b32 s29, s1, 0xffff
	s_cmp_lg_u32 s29, 1
	s_cbranch_scc1 .LBB0_7
; %bb.1:
	v_sub_u32_e32 v1, 0x303a, v0
	v_lshrrev_b32_e32 v1, 1, v1
	s_mov_b32 s3, s0
	v_add_u32_e32 v6, 1, v1
	s_mov_b32 s1, s0
	s_mov_b32 s2, s0
	v_mov_b32_e32 v4, s3
	v_and_b32_e32 v7, 0x3ff8, v6
	v_lshlrev_b32_e32 v5, 1, v0
	s_mov_b64 s[20:21], 0
	v_mov_b32_e32 v3, s2
	v_mov_b32_e32 v2, s1
	;; [unrolled: 1-line block ×3, first 2 shown]
.LBB0_2:                                ; =>This Inner Loop Header: Depth=1
	v_add_u32_e32 v7, -8, v7
	v_cmp_eq_u32_e32 vcc, 0, v7
	ds_write_b128 v5, v[1:4]
	ds_write_b128 v5, v[1:4] offset:16
	s_or_b64 s[20:21], vcc, s[20:21]
	v_add_u32_e32 v5, 32, v5
	s_andn2_b64 exec, exec, s[20:21]
	s_cbranch_execnz .LBB0_2
; %bb.3:
	s_or_b64 exec, exec, s[20:21]
	v_and_b32_e32 v1, 7, v6
	v_cmp_ne_u32_e32 vcc, 0, v1
	s_and_saveexec_b64 s[0:1], vcc
	s_cbranch_execz .LBB0_6
; %bb.4:
	v_sub_u32_e32 v1, 0, v1
	s_mov_b64 s[2:3], 0
	v_mov_b32_e32 v2, 0
.LBB0_5:                                ; =>This Inner Loop Header: Depth=1
	v_add_co_u32_e32 v1, vcc, 1, v1
	ds_write_b32 v5, v2
	s_or_b64 s[2:3], vcc, s[2:3]
	v_add_u32_e32 v5, 4, v5
	s_andn2_b64 exec, exec, s[2:3]
	s_cbranch_execnz .LBB0_5
.LBB0_6:
	s_or_b64 exec, exec, s[0:1]
	v_sub_u32_e32 v2, 0x303c, v0
	v_and_b32_e32 v3, 0x3ffe, v2
	v_add_u32_e32 v1, v0, v3
	v_cmp_ne_u32_e64 s[2:3], v2, v3
	s_load_dwordx8 s[20:27], s[4:5], 0x0
	s_mul_hi_u32 s4, s9, s31
	s_and_saveexec_b64 s[0:1], s[2:3]
	s_cbranch_execnz .LBB0_8
	s_branch .LBB0_10
.LBB0_7:
	s_mov_b64 s[2:3], -1
	v_mov_b32_e32 v1, v0
	s_load_dwordx8 s[20:27], s[4:5], 0x0
	s_mul_hi_u32 s4, s9, s31
	s_and_saveexec_b64 s[0:1], s[2:3]
	s_cbranch_execz .LBB0_10
.LBB0_8:
	v_lshlrev_b32_e32 v2, 1, v1
	s_lshl_b32 s5, s29, 1
	s_mov_b64 s[2:3], 0
	v_mov_b32_e32 v3, 0
	s_movk_i32 s31, 0x303b
.LBB0_9:                                ; =>This Inner Loop Header: Depth=1
	v_add_u32_e32 v1, s29, v1
	v_cmp_lt_u32_e32 vcc, s31, v1
	ds_write_b16 v2, v3
	s_or_b64 s[2:3], vcc, s[2:3]
	v_add_u32_e32 v2, s5, v2
	s_andn2_b64 exec, exec, s[2:3]
	s_cbranch_execnz .LBB0_9
.LBB0_10:
	s_or_b64 exec, exec, s[0:1]
	s_ashr_i32 s29, s28, 31
	s_ashr_i32 s0, s30, 31
	v_readfirstlane_b32 s2, v0
	s_cmpk_lt_u32 s2, 0xb40
	s_waitcnt lgkmcnt(0)
	s_barrier
	s_cbranch_scc0 .LBB0_23
; %bb.11:
	s_mul_i32 s1, s4, s7
	s_sub_i32 s1, s9, s1
	s_xor_b32 s0, s29, s0
	s_add_i32 s3, s4, 1
	s_sub_i32 s5, s1, s7
	s_cmp_ge_u32 s1, s7
	s_cselect_b32 s3, s3, s4
	s_cselect_b32 s1, s5, s1
	s_add_i32 s4, s3, 1
	s_cmp_ge_u32 s1, s7
	s_cselect_b32 s1, s4, s3
	s_xor_b32 s1, s1, s0
	s_sub_i32 s0, s1, s0
	s_mul_i32 s1, s12, s6
	s_add_i32 s0, s0, s1
	s_mul_i32 s0, s0, s13
	s_add_i32 s0, s0, s8
	s_mul_i32 s1, s15, s14
	s_mul_i32 s0, s1, s0
	s_ashr_i32 s1, s0, 31
	s_lshl_b64 s[0:1], s[0:1], 1
	s_add_u32 s0, s20, s0
	s_addc_u32 s1, s21, s1
	s_lshr_b32 s7, s2, 6
	v_and_b32_e32 v0, 63, v0
	v_lshlrev_b32_e32 v1, 2, v0
	s_mul_i32 s2, s15, s7
	s_add_i32 s5, s7, -4
	s_mul_i32 s9, s7, 0xa8
	v_cmp_gt_u32_e32 vcc, 40, v0
	v_lshl_add_u32 v2, s2, 1, v1
	s_lshl_b32 s4, s15, 3
	s_add_i32 s12, s9, 0x154
	s_mov_b32 s13, s5
	s_branch .LBB0_13
.LBB0_12:                               ;   in Loop: Header=BB0_13 Depth=1
	s_or_b64 exec, exec, s[2:3]
	s_add_i32 s13, s13, 4
	s_addk_i32 s12, 0x2a0
	s_cmp_gt_u32 s13, 40
	v_add_u32_e32 v2, s4, v2
	s_cbranch_scc1 .LBB0_15
.LBB0_13:                               ; =>This Inner Loop Header: Depth=1
	s_and_saveexec_b64 s[2:3], vcc
	s_cbranch_execz .LBB0_12
; %bb.14:                               ;   in Loop: Header=BB0_13 Depth=1
	v_readfirstlane_b32 s20, v0
	s_lshl_b32 s20, s20, 2
	s_add_i32 s20, s12, s20
	;;#ASMSTART
	s_mov_b32 m0, s20
	s_nop 1

	;;#ASMEND
	;;#ASMSTART
	global_load_lds_dword v2, s[0:1] offset:0
	;;#ASMEND
	s_branch .LBB0_12
.LBB0_15:
	s_add_i32 s2, s14, s7
	s_mul_i32 s2, s15, s2
	s_add_i32 s12, s9, 0x217c
	v_lshl_add_u32 v2, s2, 1, v1
	s_mov_b32 s13, s5
	s_branch .LBB0_17
.LBB0_16:                               ;   in Loop: Header=BB0_17 Depth=1
	s_or_b64 exec, exec, s[2:3]
	s_add_i32 s13, s13, 4
	s_addk_i32 s12, 0x2a0
	s_cmp_lt_u32 s13, 41
	v_add_u32_e32 v2, s4, v2
	s_cbranch_scc0 .LBB0_19
.LBB0_17:                               ; =>This Inner Loop Header: Depth=1
	s_and_saveexec_b64 s[2:3], vcc
	s_cbranch_execz .LBB0_16
; %bb.18:                               ;   in Loop: Header=BB0_17 Depth=1
	v_readfirstlane_b32 s20, v0
	s_lshl_b32 s20, s20, 2
	s_add_i32 s20, s12, s20
	;;#ASMSTART
	s_mov_b32 m0, s20
	s_nop 1

	;;#ASMEND
	;;#ASMSTART
	global_load_lds_dword v2, s[0:1] offset:0
	;;#ASMEND
	s_branch .LBB0_16
.LBB0_19:
	s_lshl_b32 s2, s14, 1
	s_add_i32 s7, s7, s2
	s_mul_i32 s2, s15, s7
	s_addk_i32 s9, 0x41a4
	v_lshl_add_u32 v1, s2, 1, v1
	s_branch .LBB0_21
.LBB0_20:                               ;   in Loop: Header=BB0_21 Depth=1
	s_or_b64 exec, exec, s[2:3]
	s_add_i32 s5, s5, 4
	s_addk_i32 s9, 0x2a0
	s_cmp_lt_u32 s5, 41
	v_add_u32_e32 v1, s4, v1
	s_cbranch_scc0 .LBB0_23
.LBB0_21:                               ; =>This Inner Loop Header: Depth=1
	s_and_saveexec_b64 s[2:3], vcc
	s_cbranch_execz .LBB0_20
; %bb.22:                               ;   in Loop: Header=BB0_21 Depth=1
	v_readfirstlane_b32 s7, v0
	s_lshl_b32 s7, s7, 2
	s_add_i32 s7, s9, s7
	;;#ASMSTART
	s_mov_b32 m0, s7
	s_nop 1

	;;#ASMEND
	;;#ASMSTART
	global_load_lds_dword v1, s[0:1] offset:0
	;;#ASMEND
	s_branch .LBB0_20
.LBB0_23:
	s_mul_i32 s0, s28, 0x4b
	s_ashr_i32 s1, s0, 31
	s_lshl_b64 s[0:1], s[0:1], 1
	s_add_u32 s0, s24, s0
	s_addc_u32 s1, s25, s1
	v_mov_b32_e32 v37, 0
	global_load_dwordx4 v[32:35], v37, s[0:1]
	global_load_dwordx4 v[28:31], v37, s[0:1] offset:16
	global_load_dwordx4 v[24:27], v37, s[0:1] offset:32
	global_load_dwordx4 v[20:23], v37, s[0:1] offset:48
	global_load_dwordx4 v[16:19], v37, s[0:1] offset:64
	global_load_dwordx4 v[12:15], v37, s[0:1] offset:80
	global_load_dwordx4 v[8:11], v37, s[0:1] offset:96
	global_load_dwordx4 v[4:7], v37, s[0:1] offset:112
	global_load_dwordx4 v[0:3], v37, s[0:1] offset:128
	global_load_dword v75, v37, s[0:1] offset:144
	global_load_ushort v76, v37, s[0:1] offset:148
	s_cmp_lg_u64 s[26:27], 0
	s_mov_b64 s[0:1], 0
	s_cbranch_scc0 .LBB0_25
; %bb.24:
	s_lshl_b64 s[2:3], s[28:29], 1
	s_add_u32 s2, s26, s2
	s_addc_u32 s3, s27, s3
	v_mov_b32_e32 v37, 0
	global_load_ushort v37, v37, s[2:3]
	s_waitcnt vmcnt(0)
	v_lshlrev_b32_e32 v37, 16, v37
.LBB0_25:
	s_mul_i32 s2, s16, s6
	s_add_i32 s2, s2, s28
	s_mul_i32 s2, s2, s17
	s_add_i32 s2, s2, s8
	s_mul_i32 s3, s19, s18
	s_mul_i32 s2, s3, s2
	s_ashr_i32 s3, s2, 31
	s_lshl_b64 s[2:3], s[2:3], 1
	s_add_u32 s2, s22, s2
	;;#ASMSTART
	s_waitcnt vmcnt(0)

	;;#ASMEND
	s_addc_u32 s6, s23, s3
	s_waitcnt vmcnt(10)
	v_lshlrev_b32_e32 v38, 16, v32
	v_and_b32_e32 v32, 0xffff0000, v32
	v_lshlrev_b32_e32 v39, 16, v33
	v_and_b32_e32 v33, 0xffff0000, v33
	v_lshlrev_b32_e32 v40, 16, v34
	v_and_b32_e32 v34, 0xffff0000, v34
	v_lshlrev_b32_e32 v41, 16, v35
	v_and_b32_e32 v35, 0xffff0000, v35
	s_waitcnt vmcnt(9)
	v_lshlrev_b32_e32 v42, 16, v28
	v_and_b32_e32 v28, 0xffff0000, v28
	v_lshlrev_b32_e32 v43, 16, v29
	v_and_b32_e32 v29, 0xffff0000, v29
	v_lshlrev_b32_e32 v44, 16, v30
	v_and_b32_e32 v30, 0xffff0000, v30
	v_lshlrev_b32_e32 v45, 16, v31
	v_and_b32_e32 v31, 0xffff0000, v31
	s_waitcnt vmcnt(8)
	v_lshlrev_b32_e32 v46, 16, v24
	v_and_b32_e32 v24, 0xffff0000, v24
	v_lshlrev_b32_e32 v47, 16, v25
	v_and_b32_e32 v25, 0xffff0000, v25
	v_lshlrev_b32_e32 v48, 16, v26
	v_and_b32_e32 v26, 0xffff0000, v26
	v_lshlrev_b32_e32 v49, 16, v27
	v_and_b32_e32 v27, 0xffff0000, v27
	s_waitcnt vmcnt(7)
	v_lshlrev_b32_e32 v50, 16, v20
	v_and_b32_e32 v20, 0xffff0000, v20
	v_lshlrev_b32_e32 v51, 16, v21
	v_and_b32_e32 v21, 0xffff0000, v21
	v_lshlrev_b32_e32 v52, 16, v22
	v_and_b32_e32 v22, 0xffff0000, v22
	v_lshlrev_b32_e32 v53, 16, v23
	v_and_b32_e32 v23, 0xffff0000, v23
	s_waitcnt vmcnt(6)
	v_lshlrev_b32_e32 v54, 16, v16
	v_and_b32_e32 v16, 0xffff0000, v16
	v_lshlrev_b32_e32 v55, 16, v17
	v_and_b32_e32 v17, 0xffff0000, v17
	v_lshlrev_b32_e32 v56, 16, v18
	v_and_b32_e32 v18, 0xffff0000, v18
	v_lshlrev_b32_e32 v57, 16, v19
	v_and_b32_e32 v19, 0xffff0000, v19
	s_waitcnt vmcnt(5)
	v_lshlrev_b32_e32 v58, 16, v12
	v_and_b32_e32 v12, 0xffff0000, v12
	v_lshlrev_b32_e32 v59, 16, v13
	v_and_b32_e32 v13, 0xffff0000, v13
	v_lshlrev_b32_e32 v60, 16, v14
	v_and_b32_e32 v14, 0xffff0000, v14
	v_lshlrev_b32_e32 v61, 16, v15
	v_and_b32_e32 v15, 0xffff0000, v15
	s_waitcnt vmcnt(4)
	v_lshlrev_b32_e32 v62, 16, v8
	v_and_b32_e32 v8, 0xffff0000, v8
	v_lshlrev_b32_e32 v63, 16, v9
	v_and_b32_e32 v9, 0xffff0000, v9
	v_lshlrev_b32_e32 v64, 16, v10
	v_and_b32_e32 v10, 0xffff0000, v10
	v_lshlrev_b32_e32 v65, 16, v11
	v_and_b32_e32 v11, 0xffff0000, v11
	s_waitcnt vmcnt(3)
	v_lshlrev_b32_e32 v66, 16, v4
	v_and_b32_e32 v4, 0xffff0000, v4
	v_lshlrev_b32_e32 v67, 16, v5
	v_and_b32_e32 v5, 0xffff0000, v5
	v_lshlrev_b32_e32 v68, 16, v6
	v_and_b32_e32 v6, 0xffff0000, v6
	v_lshlrev_b32_e32 v69, 16, v7
	v_and_b32_e32 v7, 0xffff0000, v7
	s_waitcnt vmcnt(2)
	v_lshlrev_b32_e32 v70, 16, v0
	v_and_b32_e32 v0, 0xffff0000, v0
	v_lshlrev_b32_e32 v71, 16, v1
	v_and_b32_e32 v1, 0xffff0000, v1
	v_lshlrev_b32_e32 v72, 16, v2
	v_and_b32_e32 v2, 0xffff0000, v2
	v_lshlrev_b32_e32 v73, 16, v3
	v_and_b32_e32 v3, 0xffff0000, v3
	s_waitcnt vmcnt(1)
	v_lshlrev_b32_e32 v74, 16, v75
	v_and_b32_e32 v75, 0xffff0000, v75
	s_waitcnt vmcnt(0)
	v_lshlrev_b32_e32 v76, 16, v76
	s_mov_b32 s3, 0xcccd
	s_movk_i32 s4, 0xa8
	s_movk_i32 s5, 0x7fff
	v_mov_b32_e32 v77, s6
	s_movk_i32 s6, 0xe0f
	s_barrier
.LBB0_26:                               ; =>This Inner Loop Header: Depth=1
	v_mul_u32_u24_sdwa v78, v36, s3 dst_sel:DWORD dst_unused:UNUSED_PAD src0_sel:WORD_0 src1_sel:DWORD
	v_lshrrev_b32_e32 v89, 22, v78
	v_mul_lo_u16_e32 v78, 0x50, v89
	v_sub_u16_e32 v88, v36, v78
	v_lshlrev_b32_e32 v78, 1, v88
	v_mad_u32_u24 v78, v89, s4, v78
	;;#ASMSTART
	ds_read_b32 v90, v78 offset:0
	;;#ASMEND
	;;#ASMSTART
	ds_read_b32 v91, v78 offset:4
	;;#ASMEND
	;; [unrolled: 3-line block ×45, first 2 shown]
	;;#ASMSTART
	s_waitcnt lgkmcnt(0)

	;;#ASMEND
	; sched_barrier mask(0x00000000)
	v_mov_b32_e32 v126, v37
	v_lshlrev_b32_e32 v125, 16, v90
	;;#ASMSTART
	v_fmac_f32 v126, v38, v125
	;;#ASMEND
	v_and_b32_e32 v90, 0xffff0000, v90
	;;#ASMSTART
	v_fmac_f32 v126, v32, v90
	;;#ASMEND
	v_lshlrev_b32_e32 v125, 16, v91
	;;#ASMSTART
	v_fmac_f32 v126, v39, v125
	;;#ASMEND
	v_and_b32_e32 v91, 0xffff0000, v91
	;;#ASMSTART
	v_fmac_f32 v126, v33, v91
	;;#ASMEND
	v_lshlrev_b32_e32 v127, 16, v92
	;;#ASMSTART
	v_fmac_f32 v126, v40, v127
	;;#ASMEND
	v_lshlrev_b32_e32 v128, 16, v93
	;;#ASMSTART
	v_fmac_f32 v126, v34, v128
	;;#ASMEND
	v_and_b32_e32 v93, 0xffff0000, v93
	;;#ASMSTART
	v_fmac_f32 v126, v41, v93
	;;#ASMEND
	v_lshlrev_b32_e32 v128, 16, v94
	;;#ASMSTART
	v_fmac_f32 v126, v35, v128
	;;#ASMEND
	v_and_b32_e32 v94, 0xffff0000, v94
	;;#ASMSTART
	v_fmac_f32 v126, v42, v94
	;;#ASMEND
	v_lshlrev_b32_e32 v129, 16, v95
	;;#ASMSTART
	v_fmac_f32 v126, v28, v129
	;;#ASMEND
	;; [unrolled: 20-line block ×13, first 2 shown]
	v_lshlrev_b32_e32 v152, 16, v121
	;;#ASMSTART
	v_fmac_f32 v126, v0, v152
	;;#ASMEND
	v_mad_u64_u32 v[88:89], s[8:9], s19, v89, v[88:89]
	v_and_b32_e32 v121, 0xffff0000, v121
	;;#ASMSTART
	v_fmac_f32 v126, v71, v121
	;;#ASMEND
	v_lshlrev_b32_e32 v152, 16, v122
	;;#ASMSTART
	v_fmac_f32 v126, v1, v152
	;;#ASMEND
	v_and_b32_e32 v122, 0xffff0000, v122
	;;#ASMSTART
	v_fmac_f32 v126, v72, v122
	;;#ASMEND
	v_lshlrev_b32_e32 v153, 16, v79
	;;#ASMSTART
	v_fmac_f32 v126, v2, v153
	;;#ASMEND
	v_ashrrev_i32_e32 v89, 31, v88
	v_lshlrev_b32_e32 v154, 16, v123
	;;#ASMSTART
	v_fmac_f32 v126, v73, v154
	;;#ASMEND
	v_lshlrev_b64 v[88:89], 1, v[88:89]
	v_and_b32_e32 v123, 0xffff0000, v123
	;;#ASMSTART
	v_fmac_f32 v126, v3, v123
	;;#ASMEND
	v_lshlrev_b32_e32 v154, 16, v124
	;;#ASMSTART
	v_fmac_f32 v126, v74, v154
	;;#ASMEND
	v_add_co_u32_e32 v88, vcc, s2, v88
	v_and_b32_e32 v124, 0xffff0000, v124
	;;#ASMSTART
	v_fmac_f32 v126, v75, v124
	;;#ASMEND
	v_addc_co_u32_e32 v89, vcc, v77, v89, vcc
	v_lshlrev_b32_e32 v155, 16, v78
	;;#ASMSTART
	v_fmac_f32 v126, v76, v155
	;;#ASMEND
	v_bfe_u32 v156, v126, 16, 1
	v_add3_u32 v156, v156, v126, s5
	v_or_b32_e32 v157, 0x400000, v126
	v_cmp_u_f32_e32 vcc, v126, v126
	v_cndmask_b32_e32 v126, v156, v157, vcc
	global_store_short_d16_hi v[88:89], v126, off
	v_mov_b32_e32 v126, v37
	;;#ASMSTART
	v_fmac_f32 v126, v38, v90
	;;#ASMEND
	;;#ASMSTART
	v_fmac_f32 v126, v32, v125
	;;#ASMEND
	;;#ASMSTART
	v_fmac_f32 v126, v39, v91
	;;#ASMEND
	;;#ASMSTART
	v_fmac_f32 v126, v33, v127
	;;#ASMEND
	v_and_b32_e32 v90, 0xffff0000, v92
	;;#ASMSTART
	v_fmac_f32 v126, v40, v90
	;;#ASMEND
	;;#ASMSTART
	v_fmac_f32 v126, v34, v93
	;;#ASMEND
	;;#ASMSTART
	v_fmac_f32 v126, v41, v128
	;;#ASMEND
	;;#ASMSTART
	v_fmac_f32 v126, v35, v94
	;;#ASMEND
	;;#ASMSTART
	v_fmac_f32 v126, v42, v129
	;;#ASMEND
	v_and_b32_e32 v90, 0xffff0000, v95
	;;#ASMSTART
	v_fmac_f32 v126, v28, v90
	;;#ASMEND
	;; [unrolled: 16-line block ×15, first 2 shown]
	s_load_dword s7, s[10:11], 0xc
	v_bfe_u32 v78, v126, 16, 1
	v_add3_u32 v78, v78, v126, s5
	v_or_b32_e32 v79, 0x400000, v126
	v_cmp_u_f32_e32 vcc, v126, v126
	s_waitcnt lgkmcnt(0)
	s_and_b32 s7, s7, 0xffff
	v_lshl_add_u32 v36, s7, 1, v36
	v_cndmask_b32_e32 v78, v78, v79, vcc
	v_cmp_lt_u32_e32 vcc, s6, v36
	s_or_b64 s[0:1], vcc, s[0:1]
	global_store_short_d16_hi v[88:89], v78, off offset:2
	s_andn2_b64 exec, exec, s[0:1]
	s_cbranch_execnz .LBB0_26
; %bb.27:
	s_endpgm
	.section	.rodata,"a",@progbits
	.p2align	6, 0x0
	.amdhsa_kernel miopen_conv3d_depthwise_fwd
		.amdhsa_group_segment_fixed_size 32576
		.amdhsa_private_segment_fixed_size 0
		.amdhsa_kernarg_size 320
		.amdhsa_user_sgpr_count 6
		.amdhsa_user_sgpr_private_segment_buffer 1
		.amdhsa_user_sgpr_dispatch_ptr 0
		.amdhsa_user_sgpr_queue_ptr 0
		.amdhsa_user_sgpr_kernarg_segment_ptr 1
		.amdhsa_user_sgpr_dispatch_id 0
		.amdhsa_user_sgpr_flat_scratch_init 0
		.amdhsa_user_sgpr_private_segment_size 0
		.amdhsa_uses_dynamic_stack 0
		.amdhsa_system_sgpr_private_segment_wavefront_offset 0
		.amdhsa_system_sgpr_workgroup_id_x 1
		.amdhsa_system_sgpr_workgroup_id_y 1
		.amdhsa_system_sgpr_workgroup_id_z 1
		.amdhsa_system_sgpr_workgroup_info 0
		.amdhsa_system_vgpr_workitem_id 0
		.amdhsa_next_free_vgpr 158
		.amdhsa_next_free_sgpr 98
		.amdhsa_reserve_vcc 1
		.amdhsa_reserve_flat_scratch 0
		.amdhsa_float_round_mode_32 0
		.amdhsa_float_round_mode_16_64 0
		.amdhsa_float_denorm_mode_32 3
		.amdhsa_float_denorm_mode_16_64 3
		.amdhsa_dx10_clamp 1
		.amdhsa_ieee_mode 1
		.amdhsa_fp16_overflow 0
		.amdhsa_exception_fp_ieee_invalid_op 0
		.amdhsa_exception_fp_denorm_src 0
		.amdhsa_exception_fp_ieee_div_zero 0
		.amdhsa_exception_fp_ieee_overflow 0
		.amdhsa_exception_fp_ieee_underflow 0
		.amdhsa_exception_fp_ieee_inexact 0
		.amdhsa_exception_int_div_zero 0
	.end_amdhsa_kernel
	.text
.Lfunc_end0:
	.size	miopen_conv3d_depthwise_fwd, .Lfunc_end0-miopen_conv3d_depthwise_fwd
                                        ; -- End function
	.set miopen_conv3d_depthwise_fwd.num_vgpr, 158
	.set miopen_conv3d_depthwise_fwd.num_agpr, 0
	.set miopen_conv3d_depthwise_fwd.numbered_sgpr, 32
	.set miopen_conv3d_depthwise_fwd.num_named_barrier, 0
	.set miopen_conv3d_depthwise_fwd.private_seg_size, 0
	.set miopen_conv3d_depthwise_fwd.uses_vcc, 1
	.set miopen_conv3d_depthwise_fwd.uses_flat_scratch, 0
	.set miopen_conv3d_depthwise_fwd.has_dyn_sized_stack, 0
	.set miopen_conv3d_depthwise_fwd.has_recursion, 0
	.set miopen_conv3d_depthwise_fwd.has_indirect_call, 0
	.section	.AMDGPU.csdata,"",@progbits
; Kernel info:
; codeLenInByte = 4008
; TotalNumSgprs: 36
; NumVgprs: 158
; ScratchSize: 0
; MemoryBound: 0
; FloatMode: 240
; IeeeMode: 1
; LDSByteSize: 32576 bytes/workgroup (compile time only)
; SGPRBlocks: 12
; VGPRBlocks: 39
; NumSGPRsForWavesPerEU: 102
; NumVGPRsForWavesPerEU: 158
; Occupancy: 1
; WaveLimiterHint : 0
; COMPUTE_PGM_RSRC2:SCRATCH_EN: 0
; COMPUTE_PGM_RSRC2:USER_SGPR: 6
; COMPUTE_PGM_RSRC2:TRAP_HANDLER: 0
; COMPUTE_PGM_RSRC2:TGID_X_EN: 1
; COMPUTE_PGM_RSRC2:TGID_Y_EN: 1
; COMPUTE_PGM_RSRC2:TGID_Z_EN: 1
; COMPUTE_PGM_RSRC2:TIDIG_COMP_CNT: 0
	.section	.AMDGPU.gpr_maximums,"",@progbits
	.set amdgpu.max_num_vgpr, 0
	.set amdgpu.max_num_agpr, 0
	.set amdgpu.max_num_sgpr, 0
	.section	.AMDGPU.csdata,"",@progbits
	.type	__hip_cuid_72acab80c87dccf4,@object ; @__hip_cuid_72acab80c87dccf4
	.section	.bss,"aw",@nobits
	.globl	__hip_cuid_72acab80c87dccf4
__hip_cuid_72acab80c87dccf4:
	.byte	0                               ; 0x0
	.size	__hip_cuid_72acab80c87dccf4, 1

	.ident	"AMD clang version 22.0.0git (https://github.com/RadeonOpenCompute/llvm-project roc-7.2.4 26084 f58b06dce1f9c15707c5f808fd002e18c2accf7e)"
	.section	".note.GNU-stack","",@progbits
	.addrsig
	.addrsig_sym __hip_cuid_72acab80c87dccf4
	.amdgpu_metadata
---
amdhsa.kernels:
  - .args:
      - .address_space:  global
        .offset:         0
        .size:           8
        .value_kind:     global_buffer
      - .actual_access:  write_only
        .address_space:  global
        .offset:         8
        .size:           8
        .value_kind:     global_buffer
      - .actual_access:  read_only
        .address_space:  global
        .offset:         16
        .size:           8
        .value_kind:     global_buffer
      - .actual_access:  read_only
        .address_space:  global
        .offset:         24
        .size:           8
        .value_kind:     global_buffer
      - .offset:         32
        .size:           4
        .value_kind:     by_value
      - .offset:         36
        .size:           4
        .value_kind:     by_value
      - .offset:         40
        .size:           4
        .value_kind:     by_value
      - .offset:         44
        .size:           4
        .value_kind:     by_value
      - .offset:         48
        .size:           4
        .value_kind:     by_value
      - .offset:         52
        .size:           4
        .value_kind:     by_value
      - .offset:         56
        .size:           4
        .value_kind:     by_value
      - .offset:         60
        .size:           4
        .value_kind:     by_value
      - .offset:         64
        .size:           4
        .value_kind:     hidden_block_count_x
      - .offset:         68
        .size:           4
        .value_kind:     hidden_block_count_y
      - .offset:         72
        .size:           4
        .value_kind:     hidden_block_count_z
      - .offset:         76
        .size:           2
        .value_kind:     hidden_group_size_x
      - .offset:         78
        .size:           2
        .value_kind:     hidden_group_size_y
      - .offset:         80
        .size:           2
        .value_kind:     hidden_group_size_z
      - .offset:         82
        .size:           2
        .value_kind:     hidden_remainder_x
      - .offset:         84
        .size:           2
        .value_kind:     hidden_remainder_y
      - .offset:         86
        .size:           2
        .value_kind:     hidden_remainder_z
      - .offset:         104
        .size:           8
        .value_kind:     hidden_global_offset_x
      - .offset:         112
        .size:           8
        .value_kind:     hidden_global_offset_y
      - .offset:         120
        .size:           8
        .value_kind:     hidden_global_offset_z
      - .offset:         128
        .size:           2
        .value_kind:     hidden_grid_dims
    .group_segment_fixed_size: 32576
    .kernarg_segment_align: 8
    .kernarg_segment_size: 320
    .language:       OpenCL C
    .language_version:
      - 2
      - 0
    .max_flat_workgroup_size: 256
    .name:           miopen_conv3d_depthwise_fwd
    .private_segment_fixed_size: 0
    .sgpr_count:     36
    .sgpr_spill_count: 0
    .symbol:         miopen_conv3d_depthwise_fwd.kd
    .uniform_work_group_size: 1
    .uses_dynamic_stack: false
    .vgpr_count:     158
    .vgpr_spill_count: 0
    .wavefront_size: 64
amdhsa.target:   amdgcn-amd-amdhsa--gfx906
amdhsa.version:
  - 1
  - 2
...

	.end_amdgpu_metadata
